;; amdgpu-corpus repo=ROCm/rocFFT kind=compiled arch=gfx906 opt=O3
	.text
	.amdgcn_target "amdgcn-amd-amdhsa--gfx906"
	.amdhsa_code_object_version 6
	.protected	bluestein_single_back_len588_dim1_dp_op_CI_CI ; -- Begin function bluestein_single_back_len588_dim1_dp_op_CI_CI
	.globl	bluestein_single_back_len588_dim1_dp_op_CI_CI
	.p2align	8
	.type	bluestein_single_back_len588_dim1_dp_op_CI_CI,@function
bluestein_single_back_len588_dim1_dp_op_CI_CI: ; @bluestein_single_back_len588_dim1_dp_op_CI_CI
; %bb.0:
	v_mul_u32_u24_e32 v1, 0x30d, v0
	s_load_dwordx4 s[16:19], s[4:5], 0x28
	v_lshrrev_b32_e32 v1, 16, v1
	v_mad_u64_u32 v[136:137], s[0:1], s6, 3, v[1:2]
	v_mov_b32_e32 v137, 0
	s_waitcnt lgkmcnt(0)
	v_cmp_gt_u64_e32 vcc, s[16:17], v[136:137]
	s_and_saveexec_b64 s[0:1], vcc
	s_cbranch_execz .LBB0_18
; %bb.1:
	s_load_dwordx4 s[8:11], s[4:5], 0x18
	s_load_dwordx4 s[12:15], s[4:5], 0x0
	v_mul_lo_u16_e32 v1, 0x54, v1
	v_sub_u16_e32 v137, v0, v1
	v_lshlrev_b32_e32 v84, 4, v137
	s_waitcnt lgkmcnt(0)
	s_load_dwordx4 s[0:3], s[8:9], 0x0
	s_mov_b32 s16, 0xaaaaaaaa
	s_mov_b32 s17, 0xbff2aaaa
	s_load_dwordx2 s[4:5], s[4:5], 0x38
	s_waitcnt lgkmcnt(0)
	v_mad_u64_u32 v[0:1], s[6:7], s2, v136, 0
	v_mad_u64_u32 v[2:3], s[6:7], s0, v137, 0
	s_mul_hi_u32 s6, s0, 0x540
	s_mulk_i32 s0, 0x540
	v_mad_u64_u32 v[4:5], s[2:3], s3, v136, v[1:2]
	v_mad_u64_u32 v[5:6], s[2:3], s1, v137, v[3:4]
	v_mov_b32_e32 v1, v4
	v_lshlrev_b64 v[0:1], 4, v[0:1]
	v_mov_b32_e32 v6, s19
	v_mov_b32_e32 v3, v5
	v_add_co_u32_e32 v4, vcc, s18, v0
	v_addc_co_u32_e32 v5, vcc, v6, v1, vcc
	v_lshlrev_b64 v[0:1], 4, v[2:3]
	v_mov_b32_e32 v2, s13
	v_add_co_u32_e32 v0, vcc, v4, v0
	v_add_co_u32_e64 v112, s[2:3], s12, v84
	s_mulk_i32 s1, 0x540
	v_addc_co_u32_e32 v1, vcc, v5, v1, vcc
	v_addc_co_u32_e64 v8, vcc, 0, v2, s[2:3]
	s_add_i32 s1, s6, s1
	global_load_dwordx4 v[28:31], v[0:1], off
	v_mov_b32_e32 v2, s1
	v_add_co_u32_e32 v0, vcc, s0, v0
	v_addc_co_u32_e32 v1, vcc, v1, v2, vcc
	v_mov_b32_e32 v3, s1
	v_add_co_u32_e32 v2, vcc, s0, v0
	v_addc_co_u32_e32 v3, vcc, v1, v3, vcc
	global_load_dwordx4 v[24:27], v84, s[12:13]
	global_load_dwordx4 v[12:15], v84, s[12:13] offset:1344
	global_load_dwordx4 v[32:35], v[0:1], off
	global_load_dwordx4 v[36:39], v[2:3], off
	v_mov_b32_e32 v1, s1
	v_add_co_u32_e32 v0, vcc, s0, v2
	v_addc_co_u32_e32 v1, vcc, v3, v1, vcc
	v_mov_b32_e32 v3, s1
	v_add_co_u32_e32 v2, vcc, s0, v0
	v_addc_co_u32_e32 v3, vcc, v1, v3, vcc
	s_movk_i32 s6, 0x1000
	v_add_co_u32_e32 v56, vcc, s6, v112
	v_addc_co_u32_e32 v57, vcc, 0, v8, vcc
	global_load_dwordx4 v[16:19], v84, s[12:13] offset:2688
	global_load_dwordx4 v[4:7], v84, s[12:13] offset:4032
	global_load_dwordx4 v[40:43], v[0:1], off
	global_load_dwordx4 v[44:47], v[2:3], off
	v_mov_b32_e32 v0, s1
	v_add_co_u32_e32 v8, vcc, s0, v2
	v_addc_co_u32_e32 v9, vcc, v3, v0, vcc
	global_load_dwordx4 v[48:51], v[8:9], off
	global_load_dwordx4 v[20:23], v[56:57], off offset:1280
	global_load_dwordx4 v[0:3], v[56:57], off offset:2624
	v_mov_b32_e32 v10, s1
	v_add_co_u32_e32 v58, vcc, s0, v8
	v_addc_co_u32_e32 v59, vcc, v9, v10, vcc
	global_load_dwordx4 v[8:11], v[56:57], off offset:3968
	global_load_dwordx4 v[52:55], v[58:59], off
	s_mov_b32 s0, 0xaaaaaaab
	v_mul_hi_u32 v56, v136, s0
	s_load_dwordx4 s[8:11], s[10:11], 0x0
	s_mov_b32 s0, 0x37e14327
	s_mov_b32 s1, 0x3fe948f6
	v_lshrrev_b32_e32 v56, 1, v56
	v_lshl_add_u32 v56, v56, 1, v56
	v_sub_u32_e32 v56, v136, v56
	v_mul_u32_u24_e32 v56, 0x24c, v56
	v_lshlrev_b32_e32 v139, 4, v56
	v_add_u32_e32 v138, v84, v139
	s_mov_b32 s6, 0xe976ee23
	s_mov_b32 s7, 0xbfe11646
	v_cmp_gt_u16_e32 vcc, 28, v137
                                        ; implicit-def: $vgpr84_vgpr85
	s_waitcnt vmcnt(12)
	v_mul_f64 v[56:57], v[30:31], v[26:27]
	v_mul_f64 v[58:59], v[28:29], v[26:27]
	s_waitcnt vmcnt(10)
	v_mul_f64 v[60:61], v[34:35], v[14:15]
	v_mul_f64 v[62:63], v[32:33], v[14:15]
	v_fma_f64 v[28:29], v[28:29], v[24:25], v[56:57]
	v_fma_f64 v[30:31], v[30:31], v[24:25], -v[58:59]
	v_fma_f64 v[32:33], v[32:33], v[12:13], v[60:61]
	v_fma_f64 v[34:35], v[34:35], v[12:13], -v[62:63]
	s_waitcnt vmcnt(8)
	v_mul_f64 v[64:65], v[38:39], v[18:19]
	v_mul_f64 v[66:67], v[36:37], v[18:19]
	s_waitcnt vmcnt(6)
	v_mul_f64 v[68:69], v[42:43], v[6:7]
	v_mul_f64 v[70:71], v[40:41], v[6:7]
	;; [unrolled: 3-line block ×4, first 2 shown]
	v_fma_f64 v[36:37], v[36:37], v[16:17], v[64:65]
	v_fma_f64 v[38:39], v[38:39], v[16:17], -v[66:67]
	v_fma_f64 v[40:41], v[40:41], v[4:5], v[68:69]
	s_waitcnt vmcnt(0)
	v_mul_f64 v[80:81], v[54:55], v[10:11]
	v_mul_f64 v[82:83], v[52:53], v[10:11]
	v_fma_f64 v[42:43], v[42:43], v[4:5], -v[70:71]
	v_fma_f64 v[44:45], v[44:45], v[20:21], v[72:73]
	v_fma_f64 v[46:47], v[46:47], v[20:21], -v[74:75]
	v_fma_f64 v[48:49], v[48:49], v[0:1], v[76:77]
	v_fma_f64 v[50:51], v[50:51], v[0:1], -v[78:79]
	v_fma_f64 v[52:53], v[52:53], v[8:9], v[80:81]
	v_fma_f64 v[54:55], v[54:55], v[8:9], -v[82:83]
	ds_write_b128 v138, v[28:31]
	ds_write_b128 v138, v[32:35] offset:1344
	ds_write_b128 v138, v[36:39] offset:2688
	;; [unrolled: 1-line block ×6, first 2 shown]
	s_waitcnt lgkmcnt(0)
	s_barrier
	ds_read_b128 v[28:31], v138
	ds_read_b128 v[32:35], v138 offset:1344
	ds_read_b128 v[36:39], v138 offset:8064
	;; [unrolled: 1-line block ×6, first 2 shown]
	s_waitcnt lgkmcnt(4)
	v_add_f64 v[56:57], v[32:33], v[36:37]
	v_add_f64 v[58:59], v[34:35], v[38:39]
	v_add_f64 v[32:33], v[32:33], -v[36:37]
	v_add_f64 v[34:35], v[34:35], -v[38:39]
	s_waitcnt lgkmcnt(0)
	v_add_f64 v[36:37], v[40:41], v[52:53]
	v_add_f64 v[38:39], v[42:43], v[54:55]
	v_add_f64 v[40:41], v[40:41], -v[52:53]
	v_add_f64 v[42:43], v[42:43], -v[54:55]
	v_add_f64 v[52:53], v[44:45], v[48:49]
	v_add_f64 v[54:55], v[46:47], v[50:51]
	v_add_f64 v[44:45], v[48:49], -v[44:45]
	v_add_f64 v[46:47], v[50:51], -v[46:47]
	;; [unrolled: 4-line block ×3, first 2 shown]
	v_add_f64 v[56:57], v[56:57], -v[52:53]
	v_add_f64 v[58:59], v[58:59], -v[54:55]
	;; [unrolled: 1-line block ×4, first 2 shown]
	v_add_f64 v[64:65], v[44:45], v[40:41]
	v_add_f64 v[66:67], v[46:47], v[42:43]
	v_add_f64 v[68:69], v[44:45], -v[40:41]
	v_add_f64 v[70:71], v[46:47], -v[42:43]
	v_add_f64 v[48:49], v[52:53], v[48:49]
	v_add_f64 v[50:51], v[54:55], v[50:51]
	v_add_f64 v[40:41], v[40:41], -v[32:33]
	v_add_f64 v[42:43], v[42:43], -v[34:35]
	v_mul_f64 v[52:53], v[56:57], s[0:1]
	v_mul_f64 v[54:55], v[58:59], s[0:1]
	s_mov_b32 s0, 0x36b3c0b5
	s_mov_b32 s1, 0x3fac98ee
	v_mul_f64 v[56:57], v[36:37], s[0:1]
	v_mul_f64 v[58:59], v[38:39], s[0:1]
	v_add_f64 v[44:45], v[32:33], -v[44:45]
	v_add_f64 v[46:47], v[34:35], -v[46:47]
	v_add_f64 v[32:33], v[64:65], v[32:33]
	v_add_f64 v[34:35], v[66:67], v[34:35]
	v_mul_f64 v[64:65], v[68:69], s[6:7]
	v_mul_f64 v[66:67], v[70:71], s[6:7]
	s_mov_b32 s6, 0x429ad128
	v_add_f64 v[28:29], v[28:29], v[48:49]
	v_add_f64 v[30:31], v[30:31], v[50:51]
	s_mov_b32 s7, 0x3febfeb5
	v_mul_f64 v[68:69], v[40:41], s[6:7]
	v_mul_f64 v[70:71], v[42:43], s[6:7]
	v_fma_f64 v[36:37], v[36:37], s[0:1], v[52:53]
	v_fma_f64 v[38:39], v[38:39], s[0:1], v[54:55]
	s_mov_b32 s1, 0x3fe77f67
	s_mov_b32 s0, 0x5476071b
	v_fma_f64 v[56:57], v[60:61], s[0:1], -v[56:57]
	v_fma_f64 v[58:59], v[62:63], s[0:1], -v[58:59]
	s_mov_b32 s1, 0xbfe77f67
	v_fma_f64 v[52:53], v[60:61], s[0:1], -v[52:53]
	v_fma_f64 v[54:55], v[62:63], s[0:1], -v[54:55]
	s_mov_b32 s1, 0x3fd5d0dc
	s_mov_b32 s0, 0xb247c609
	v_fma_f64 v[48:49], v[48:49], s[16:17], v[28:29]
	v_fma_f64 v[50:51], v[50:51], s[16:17], v[30:31]
	;; [unrolled: 1-line block ×4, first 2 shown]
	s_mov_b32 s1, 0xbfd5d0dc
	v_fma_f64 v[44:45], v[44:45], s[0:1], -v[68:69]
	v_fma_f64 v[46:47], v[46:47], s[0:1], -v[70:71]
	;; [unrolled: 1-line block ×4, first 2 shown]
	s_mov_b32 s0, 0x37c3f68c
	s_mov_b32 s1, 0x3fdc38aa
	v_add_f64 v[64:65], v[36:37], v[48:49]
	v_add_f64 v[66:67], v[38:39], v[50:51]
	;; [unrolled: 1-line block ×6, first 2 shown]
	v_fma_f64 v[52:53], v[34:35], s[0:1], v[62:63]
	v_fma_f64 v[54:55], v[32:33], s[0:1], v[60:61]
	v_fma_f64 v[60:61], v[34:35], s[0:1], v[46:47]
	v_fma_f64 v[62:63], v[32:33], s[0:1], v[44:45]
	v_fma_f64 v[44:45], v[34:35], s[0:1], v[42:43]
	v_fma_f64 v[46:47], v[32:33], s[0:1], v[40:41]
	s_barrier
	v_add_f64 v[32:33], v[64:65], v[52:53]
	v_add_f64 v[34:35], v[66:67], -v[54:55]
	v_add_f64 v[36:37], v[48:49], v[60:61]
	v_add_f64 v[38:39], v[50:51], -v[62:63]
	v_add_f64 v[40:41], v[56:57], -v[44:45]
	v_add_f64 v[42:43], v[46:47], v[58:59]
	v_add_f64 v[44:45], v[56:57], v[44:45]
	v_add_f64 v[46:47], v[58:59], -v[46:47]
	v_add_f64 v[48:49], v[48:49], -v[60:61]
	v_add_f64 v[50:51], v[62:63], v[50:51]
	v_add_f64 v[52:53], v[64:65], -v[52:53]
	v_add_f64 v[54:55], v[54:55], v[66:67]
	v_mul_lo_u16_e32 v56, 7, v137
	v_lshl_add_u32 v113, v56, 4, v139
	ds_write_b128 v113, v[28:31]
	ds_write_b128 v113, v[32:35] offset:16
	ds_write_b128 v113, v[36:39] offset:32
	;; [unrolled: 1-line block ×6, first 2 shown]
	s_waitcnt lgkmcnt(0)
	s_barrier
	ds_read_b128 v[60:63], v138
	ds_read_b128 v[56:59], v138 offset:1344
	ds_read_b128 v[72:75], v138 offset:3136
	;; [unrolled: 1-line block ×5, first 2 shown]
                                        ; implicit-def: $vgpr80_vgpr81
	s_and_saveexec_b64 s[0:1], vcc
	s_cbranch_execz .LBB0_3
; %bb.2:
	ds_read_b128 v[52:55], v138 offset:2688
	ds_read_b128 v[80:83], v138 offset:5824
	;; [unrolled: 1-line block ×3, first 2 shown]
.LBB0_3:
	s_or_b64 exec, exec, s[0:1]
	v_mov_b32_e32 v44, 37
	v_mul_lo_u16_sdwa v28, v137, v44 dst_sel:DWORD dst_unused:UNUSED_PAD src0_sel:BYTE_0 src1_sel:DWORD
	v_sub_u16_sdwa v29, v137, v28 dst_sel:DWORD dst_unused:UNUSED_PAD src0_sel:DWORD src1_sel:BYTE_1
	v_lshrrev_b16_e32 v29, 1, v29
	v_and_b32_e32 v29, 0x7f, v29
	v_add_u16_sdwa v28, v29, v28 dst_sel:DWORD dst_unused:UNUSED_PAD src0_sel:DWORD src1_sel:BYTE_1
	v_lshrrev_b16_e32 v88, 2, v28
	v_mul_lo_u16_e32 v28, 7, v88
	v_sub_u16_e32 v89, v137, v28
	v_mov_b32_e32 v45, 5
	v_lshlrev_b32_sdwa v36, v45, v89 dst_sel:DWORD dst_unused:UNUSED_PAD src0_sel:DWORD src1_sel:BYTE_0
	v_add_u16_e32 v114, 0x54, v137
	global_load_dwordx4 v[28:31], v36, s[14:15] offset:16
	global_load_dwordx4 v[32:35], v36, s[14:15]
	v_mul_lo_u16_sdwa v36, v114, v44 dst_sel:DWORD dst_unused:UNUSED_PAD src0_sel:BYTE_0 src1_sel:DWORD
	v_sub_u16_sdwa v37, v114, v36 dst_sel:DWORD dst_unused:UNUSED_PAD src0_sel:DWORD src1_sel:BYTE_1
	v_lshrrev_b16_e32 v37, 1, v37
	v_and_b32_e32 v37, 0x7f, v37
	v_add_u16_sdwa v36, v37, v36 dst_sel:DWORD dst_unused:UNUSED_PAD src0_sel:DWORD src1_sel:BYTE_1
	v_lshrrev_b16_e32 v90, 2, v36
	v_mul_lo_u16_e32 v36, 7, v90
	v_sub_u16_e32 v91, v114, v36
	v_lshlrev_b32_sdwa v46, v45, v91 dst_sel:DWORD dst_unused:UNUSED_PAD src0_sel:DWORD src1_sel:BYTE_0
	global_load_dwordx4 v[36:39], v46, s[14:15] offset:16
	global_load_dwordx4 v[40:43], v46, s[14:15]
	v_add_u16_e32 v46, 0xa8, v137
	v_mul_lo_u16_sdwa v44, v46, v44 dst_sel:DWORD dst_unused:UNUSED_PAD src0_sel:BYTE_0 src1_sel:DWORD
	v_sub_u16_sdwa v47, v46, v44 dst_sel:DWORD dst_unused:UNUSED_PAD src0_sel:DWORD src1_sel:BYTE_1
	v_lshrrev_b16_e32 v47, 1, v47
	v_and_b32_e32 v47, 0x7f, v47
	v_add_u16_sdwa v44, v47, v44 dst_sel:DWORD dst_unused:UNUSED_PAD src0_sel:DWORD src1_sel:BYTE_1
	v_lshrrev_b16_e32 v140, 2, v44
	v_mul_lo_u16_e32 v44, 7, v140
	v_sub_u16_e32 v141, v46, v44
	v_lshlrev_b32_sdwa v92, v45, v141 dst_sel:DWORD dst_unused:UNUSED_PAD src0_sel:DWORD src1_sel:BYTE_0
	global_load_dwordx4 v[48:51], v92, s[14:15]
	global_load_dwordx4 v[44:47], v92, s[14:15] offset:16
	v_mul_u32_u24_e32 v88, 21, v88
	v_mul_u32_u24_e32 v90, 21, v90
	v_add_u32_sdwa v88, v88, v89 dst_sel:DWORD dst_unused:UNUSED_PAD src0_sel:DWORD src1_sel:BYTE_0
	v_add_u32_sdwa v123, v90, v91 dst_sel:DWORD dst_unused:UNUSED_PAD src0_sel:DWORD src1_sel:BYTE_0
	v_lshl_add_u32 v144, v88, 4, v139
	s_mov_b32 s0, 0xe8584caa
	s_mov_b32 s1, 0x3febb67a
	;; [unrolled: 1-line block ×4, first 2 shown]
	v_lshl_add_u32 v145, v123, 4, v139
	s_waitcnt vmcnt(0) lgkmcnt(0)
	s_barrier
	v_mul_f64 v[92:93], v[78:79], v[30:31]
	v_mul_f64 v[88:89], v[74:75], v[34:35]
	;; [unrolled: 1-line block ×4, first 2 shown]
	v_fma_f64 v[76:77], v[76:77], v[28:29], -v[92:93]
	v_fma_f64 v[72:73], v[72:73], v[32:33], -v[88:89]
	v_mul_f64 v[100:101], v[70:71], v[38:39]
	v_mul_f64 v[96:97], v[66:67], v[42:43]
	;; [unrolled: 1-line block ×4, first 2 shown]
	v_fma_f64 v[74:75], v[74:75], v[32:33], v[90:91]
	v_fma_f64 v[78:79], v[78:79], v[28:29], v[94:95]
	v_add_f64 v[88:89], v[60:61], v[72:73]
	v_fma_f64 v[68:69], v[68:69], v[36:37], -v[100:101]
	v_fma_f64 v[64:65], v[64:65], v[40:41], -v[96:97]
	v_fma_f64 v[66:67], v[66:67], v[40:41], v[98:99]
	v_mul_f64 v[104:105], v[82:83], v[50:51]
	v_mul_f64 v[106:107], v[80:81], v[50:51]
	;; [unrolled: 1-line block ×4, first 2 shown]
	v_fma_f64 v[70:71], v[70:71], v[36:37], v[102:103]
	v_add_f64 v[90:91], v[72:73], v[76:77]
	v_add_f64 v[92:93], v[74:75], -v[78:79]
	v_add_f64 v[94:95], v[62:63], v[74:75]
	v_fma_f64 v[80:81], v[80:81], v[48:49], -v[104:105]
	v_fma_f64 v[82:83], v[82:83], v[48:49], v[106:107]
	v_fma_f64 v[84:85], v[84:85], v[44:45], -v[108:109]
	v_fma_f64 v[86:87], v[86:87], v[44:45], v[110:111]
	v_add_f64 v[74:75], v[74:75], v[78:79]
	v_add_f64 v[96:97], v[56:57], v[64:65]
	;; [unrolled: 1-line block ×5, first 2 shown]
	v_add_f64 v[72:73], v[72:73], -v[76:77]
	v_add_f64 v[110:111], v[80:81], v[84:85]
	v_add_f64 v[119:120], v[82:83], v[86:87]
	v_add_f64 v[100:101], v[66:67], -v[70:71]
	v_add_f64 v[106:107], v[64:65], -v[68:69]
	v_add_f64 v[108:109], v[52:53], v[80:81]
	v_add_f64 v[115:116], v[82:83], -v[86:87]
	v_add_f64 v[117:118], v[54:55], v[82:83]
	;; [unrolled: 2-line block ×3, first 2 shown]
	v_fma_f64 v[76:77], v[90:91], -0.5, v[60:61]
	v_add_f64 v[66:67], v[94:95], v[78:79]
	v_fma_f64 v[74:75], v[74:75], -0.5, v[62:63]
	v_add_f64 v[60:61], v[96:97], v[68:69]
	;; [unrolled: 2-line block ×3, first 2 shown]
	v_fma_f64 v[70:71], v[104:105], -0.5, v[58:59]
	v_fma_f64 v[90:91], v[110:111], -0.5, v[52:53]
	;; [unrolled: 1-line block ×3, first 2 shown]
	v_add_f64 v[80:81], v[108:109], v[84:85]
	v_add_f64 v[82:83], v[117:118], v[86:87]
	v_fma_f64 v[52:53], v[92:93], s[0:1], v[76:77]
	v_fma_f64 v[56:57], v[92:93], s[6:7], v[76:77]
	;; [unrolled: 1-line block ×12, first 2 shown]
	ds_write_b128 v144, v[64:67]
	ds_write_b128 v144, v[52:55] offset:112
	ds_write_b128 v144, v[56:59] offset:224
	ds_write_b128 v145, v[60:63]
	ds_write_b128 v145, v[76:79] offset:112
	ds_write_b128 v145, v[84:87] offset:224
	s_and_saveexec_b64 s[0:1], vcc
	s_cbranch_execz .LBB0_5
; %bb.4:
	v_mul_u32_u24_e32 v52, 21, v140
	v_add_u32_sdwa v52, v52, v141 dst_sel:DWORD dst_unused:UNUSED_PAD src0_sel:DWORD src1_sel:BYTE_0
	v_lshl_add_u32 v52, v52, 4, v139
	ds_write_b128 v52, v[80:83]
	ds_write_b128 v52, v[88:91] offset:112
	ds_write_b128 v52, v[100:103] offset:224
.LBB0_5:
	s_or_b64 exec, exec, s[0:1]
	s_waitcnt lgkmcnt(0)
	s_barrier
	ds_read_b128 v[92:95], v138
	ds_read_b128 v[108:111], v138 offset:2352
	ds_read_b128 v[104:107], v138 offset:4704
	;; [unrolled: 1-line block ×3, first 2 shown]
	v_cmp_gt_u16_e64 s[0:1], 63, v137
	s_and_saveexec_b64 s[6:7], s[0:1]
	s_cbranch_execz .LBB0_7
; %bb.6:
	ds_read_b128 v[76:79], v138 offset:1344
	ds_read_b128 v[84:87], v138 offset:3696
	;; [unrolled: 1-line block ×4, first 2 shown]
.LBB0_7:
	s_or_b64 exec, exec, s[6:7]
	s_movk_i32 s12, 0x87
	v_mul_lo_u16_sdwa v52, v137, s12 dst_sel:DWORD dst_unused:UNUSED_PAD src0_sel:BYTE_0 src1_sel:DWORD
	v_sub_u16_sdwa v53, v137, v52 dst_sel:DWORD dst_unused:UNUSED_PAD src0_sel:DWORD src1_sel:BYTE_1
	v_lshrrev_b16_e32 v53, 1, v53
	v_and_b32_e32 v53, 0x7f, v53
	v_add_u16_sdwa v52, v53, v52 dst_sel:DWORD dst_unused:UNUSED_PAD src0_sel:DWORD src1_sel:BYTE_1
	v_lshrrev_b16_e32 v52, 4, v52
	v_and_b32_e32 v115, 15, v52
	v_mul_lo_u16_e32 v52, 21, v115
	v_sub_u16_e32 v52, v137, v52
	v_and_b32_e32 v130, 0xff, v52
	v_mul_lo_u16_sdwa v52, v114, s12 dst_sel:DWORD dst_unused:UNUSED_PAD src0_sel:BYTE_0 src1_sel:DWORD
	v_sub_u16_sdwa v53, v114, v52 dst_sel:DWORD dst_unused:UNUSED_PAD src0_sel:DWORD src1_sel:BYTE_1
	v_lshrrev_b16_e32 v53, 1, v53
	v_and_b32_e32 v53, 0x7f, v53
	v_add_u16_sdwa v52, v53, v52 dst_sel:DWORD dst_unused:UNUSED_PAD src0_sel:DWORD src1_sel:BYTE_1
	v_mad_u64_u32 v[56:57], s[6:7], v130, 48, s[14:15]
	v_lshrrev_b16_e32 v52, 4, v52
	v_and_b32_e32 v142, 15, v52
	v_mul_lo_u16_e32 v52, 21, v142
	v_sub_u16_e32 v52, v114, v52
	global_load_dwordx4 v[64:67], v[56:57], off offset:240
	global_load_dwordx4 v[68:71], v[56:57], off offset:224
	v_and_b32_e32 v143, 0xff, v52
	v_mad_u64_u32 v[58:59], s[6:7], v143, 48, s[14:15]
	global_load_dwordx4 v[72:75], v[56:57], off offset:256
	global_load_dwordx4 v[60:63], v[58:59], off offset:224
	;; [unrolled: 1-line block ×3, first 2 shown]
                                        ; kill: killed $vgpr56_vgpr57
	s_nop 0
	global_load_dwordx4 v[56:59], v[58:59], off offset:256
	s_movk_i32 s12, 0x54
	v_mul_u32_u24_sdwa v131, v115, s12 dst_sel:DWORD dst_unused:UNUSED_PAD src0_sel:WORD_0 src1_sel:DWORD
	s_waitcnt vmcnt(0) lgkmcnt(0)
	s_barrier
	v_mul_f64 v[118:119], v[106:107], v[66:67]
	v_mul_f64 v[114:115], v[110:111], v[70:71]
	;; [unrolled: 1-line block ×8, first 2 shown]
	v_fma_f64 v[104:105], v[104:105], v[64:65], -v[118:119]
	v_fma_f64 v[108:109], v[108:109], v[68:69], -v[114:115]
	v_fma_f64 v[110:111], v[110:111], v[68:69], v[116:117]
	v_fma_f64 v[106:107], v[106:107], v[64:65], v[120:121]
	v_fma_f64 v[96:97], v[96:97], v[72:73], -v[122:123]
	v_fma_f64 v[98:99], v[98:99], v[72:73], v[124:125]
	v_mul_f64 v[114:115], v[82:83], v[54:55]
	v_mul_f64 v[116:117], v[80:81], v[54:55]
	;; [unrolled: 1-line block ×4, first 2 shown]
	v_add_f64 v[104:105], v[92:93], -v[104:105]
	v_add_f64 v[106:107], v[94:95], -v[106:107]
	;; [unrolled: 1-line block ×4, first 2 shown]
	v_fma_f64 v[84:85], v[84:85], v[60:61], -v[126:127]
	v_fma_f64 v[86:87], v[86:87], v[60:61], v[128:129]
	v_fma_f64 v[80:81], v[80:81], v[52:53], -v[114:115]
	v_fma_f64 v[82:83], v[82:83], v[52:53], v[116:117]
	v_fma_f64 v[90:91], v[90:91], v[56:57], v[120:121]
	v_fma_f64 v[88:89], v[88:89], v[56:57], -v[118:119]
	v_fma_f64 v[114:115], v[92:93], 2.0, -v[104:105]
	v_fma_f64 v[116:117], v[94:95], 2.0, -v[106:107]
	;; [unrolled: 1-line block ×4, first 2 shown]
	v_add_f64 v[80:81], v[76:77], -v[80:81]
	v_add_f64 v[82:83], v[78:79], -v[82:83]
	;; [unrolled: 1-line block ×3, first 2 shown]
	v_add_f64 v[94:95], v[106:107], v[96:97]
	v_add_f64 v[90:91], v[86:87], -v[90:91]
	v_add_f64 v[88:89], v[84:85], -v[88:89]
	;; [unrolled: 1-line block ×4, first 2 shown]
	v_add_u32_e32 v108, v131, v130
	v_lshl_add_u32 v146, v108, 4, v139
	v_fma_f64 v[108:109], v[104:105], 2.0, -v[92:93]
	v_fma_f64 v[110:111], v[106:107], 2.0, -v[94:95]
	v_add_f64 v[104:105], v[80:81], -v[90:91]
	v_add_f64 v[106:107], v[82:83], v[88:89]
	v_fma_f64 v[114:115], v[114:115], 2.0, -v[96:97]
	v_fma_f64 v[116:117], v[116:117], 2.0, -v[98:99]
	ds_write_b128 v146, v[108:111] offset:336
	ds_write_b128 v146, v[96:99] offset:672
	ds_write_b128 v146, v[114:117]
	ds_write_b128 v146, v[92:95] offset:1008
	s_and_saveexec_b64 s[6:7], s[0:1]
	s_cbranch_execz .LBB0_9
; %bb.8:
	v_fma_f64 v[92:93], v[78:79], 2.0, -v[82:83]
	v_fma_f64 v[78:79], v[86:87], 2.0, -v[90:91]
	v_fma_f64 v[90:91], v[76:77], 2.0, -v[80:81]
	v_fma_f64 v[76:77], v[84:85], 2.0, -v[88:89]
	v_fma_f64 v[82:83], v[82:83], 2.0, -v[106:107]
	v_fma_f64 v[80:81], v[80:81], 2.0, -v[104:105]
	v_mul_u32_u24_sdwa v88, v142, s12 dst_sel:DWORD dst_unused:UNUSED_PAD src0_sel:WORD_0 src1_sel:DWORD
	v_add_u32_e32 v88, v88, v143
	v_lshl_add_u32 v88, v88, 4, v139
	v_add_f64 v[78:79], v[92:93], -v[78:79]
	v_add_f64 v[76:77], v[90:91], -v[76:77]
	v_fma_f64 v[86:87], v[92:93], 2.0, -v[78:79]
	v_fma_f64 v[84:85], v[90:91], 2.0, -v[76:77]
	ds_write_b128 v88, v[80:83] offset:336
	ds_write_b128 v88, v[76:79] offset:672
	ds_write_b128 v88, v[84:87]
	ds_write_b128 v88, v[104:107] offset:1008
.LBB0_9:
	s_or_b64 exec, exec, s[6:7]
	v_mov_b32_e32 v77, s15
	s_movk_i32 s6, 0x60
	v_mov_b32_e32 v76, s14
	v_mad_u64_u32 v[108:109], s[6:7], v137, s6, v[76:77]
	s_waitcnt lgkmcnt(0)
	s_barrier
	global_load_dwordx4 v[88:91], v[108:109], off offset:1232
	global_load_dwordx4 v[84:87], v[108:109], off offset:1248
	;; [unrolled: 1-line block ×6, first 2 shown]
	ds_read_b128 v[108:111], v138
	ds_read_b128 v[114:117], v138 offset:1344
	ds_read_b128 v[118:121], v138 offset:2688
	;; [unrolled: 1-line block ×6, first 2 shown]
	s_mov_b32 s16, 0x37e14327
	s_mov_b32 s6, 0x36b3c0b5
	;; [unrolled: 1-line block ×22, first 2 shown]
	s_waitcnt vmcnt(5) lgkmcnt(5)
	v_mul_f64 v[134:135], v[116:117], v[90:91]
	v_mul_f64 v[151:152], v[114:115], v[90:91]
	s_waitcnt vmcnt(4) lgkmcnt(4)
	v_mul_f64 v[153:154], v[120:121], v[86:87]
	v_mul_f64 v[155:156], v[118:119], v[86:87]
	;; [unrolled: 3-line block ×3, first 2 shown]
	s_waitcnt vmcnt(0)
	v_mul_f64 v[169:170], v[132:133], v[98:99]
	v_mul_f64 v[171:172], v[130:131], v[98:99]
	;; [unrolled: 1-line block ×6, first 2 shown]
	v_fma_f64 v[114:115], v[114:115], v[88:89], -v[134:135]
	v_fma_f64 v[116:117], v[116:117], v[88:89], v[151:152]
	v_fma_f64 v[118:119], v[118:119], v[84:85], -v[153:154]
	v_fma_f64 v[120:121], v[120:121], v[84:85], v[155:156]
	v_fma_f64 v[134:135], v[147:148], v[92:93], -v[165:166]
	v_fma_f64 v[147:148], v[149:150], v[92:93], v[167:168]
	v_fma_f64 v[130:131], v[130:131], v[96:97], -v[169:170]
	v_fma_f64 v[132:133], v[132:133], v[96:97], v[171:172]
	v_fma_f64 v[122:123], v[122:123], v[80:81], -v[157:158]
	v_fma_f64 v[124:125], v[124:125], v[80:81], v[159:160]
	v_fma_f64 v[126:127], v[126:127], v[76:77], -v[161:162]
	v_fma_f64 v[128:129], v[128:129], v[76:77], v[163:164]
	v_add_f64 v[149:150], v[114:115], v[134:135]
	v_add_f64 v[151:152], v[116:117], v[147:148]
	v_add_f64 v[114:115], v[114:115], -v[134:135]
	v_add_f64 v[116:117], v[116:117], -v[147:148]
	v_add_f64 v[134:135], v[118:119], v[130:131]
	v_add_f64 v[147:148], v[120:121], v[132:133]
	v_add_f64 v[118:119], v[118:119], -v[130:131]
	v_add_f64 v[120:121], v[120:121], -v[132:133]
	;; [unrolled: 4-line block ×4, first 2 shown]
	v_add_f64 v[149:150], v[149:150], -v[130:131]
	v_add_f64 v[151:152], v[151:152], -v[132:133]
	;; [unrolled: 1-line block ×4, first 2 shown]
	v_add_f64 v[157:158], v[122:123], v[118:119]
	v_add_f64 v[159:160], v[124:125], v[120:121]
	v_add_f64 v[161:162], v[122:123], -v[118:119]
	v_add_f64 v[163:164], v[124:125], -v[120:121]
	v_add_f64 v[126:127], v[130:131], v[126:127]
	v_add_f64 v[128:129], v[132:133], v[128:129]
	v_add_f64 v[118:119], v[118:119], -v[114:115]
	v_add_f64 v[120:121], v[120:121], -v[116:117]
	;; [unrolled: 1-line block ×4, first 2 shown]
	v_add_f64 v[114:115], v[157:158], v[114:115]
	v_add_f64 v[116:117], v[159:160], v[116:117]
	v_mul_f64 v[130:131], v[149:150], s[16:17]
	v_mul_f64 v[132:133], v[151:152], s[16:17]
	;; [unrolled: 1-line block ×6, first 2 shown]
	v_add_f64 v[108:109], v[108:109], v[126:127]
	v_add_f64 v[110:111], v[110:111], v[128:129]
	v_mul_f64 v[161:162], v[118:119], s[14:15]
	v_mul_f64 v[163:164], v[120:121], s[14:15]
	v_fma_f64 v[134:135], v[134:135], s[6:7], v[130:131]
	v_fma_f64 v[147:148], v[147:148], s[6:7], v[132:133]
	v_fma_f64 v[149:150], v[153:154], s[22:23], -v[149:150]
	v_fma_f64 v[151:152], v[155:156], s[22:23], -v[151:152]
	;; [unrolled: 1-line block ×4, first 2 shown]
	v_fma_f64 v[153:154], v[122:123], s[24:25], v[157:158]
	v_fma_f64 v[155:156], v[124:125], s[24:25], v[159:160]
	;; [unrolled: 1-line block ×6, first 2 shown]
	v_fma_f64 v[118:119], v[118:119], s[34:35], -v[157:158]
	v_fma_f64 v[120:121], v[120:121], s[34:35], -v[159:160]
	v_fma_f64 v[153:154], v[114:115], s[28:29], v[153:154]
	v_fma_f64 v[155:156], v[116:117], s[28:29], v[155:156]
	v_add_f64 v[134:135], v[134:135], v[126:127]
	v_add_f64 v[165:166], v[147:148], v[128:129]
	v_fma_f64 v[161:162], v[114:115], s[28:29], v[122:123]
	v_fma_f64 v[163:164], v[116:117], s[28:29], v[124:125]
	v_add_f64 v[130:131], v[130:131], v[126:127]
	v_add_f64 v[132:133], v[132:133], v[128:129]
	;; [unrolled: 4-line block ×3, first 2 shown]
	v_add_f64 v[114:115], v[155:156], v[134:135]
	v_add_f64 v[116:117], v[165:166], -v[153:154]
	v_add_f64 v[118:119], v[163:164], v[130:131]
	v_add_f64 v[120:121], v[132:133], -v[161:162]
	v_mov_b32_e32 v151, s13
	v_add_f64 v[130:131], v[130:131], -v[163:164]
	v_add_f64 v[122:123], v[126:127], -v[159:160]
	v_add_f64 v[124:125], v[157:158], v[128:129]
	v_add_f64 v[126:127], v[159:160], v[126:127]
	v_add_f64 v[128:129], v[128:129], -v[157:158]
	v_add_f64 v[132:133], v[161:162], v[132:133]
	v_add_f64 v[147:148], v[134:135], -v[155:156]
	v_add_f64 v[149:150], v[153:154], v[165:166]
	v_addc_co_u32_e64 v135, s[2:3], 0, v151, s[2:3]
	s_movk_i32 s2, 0x24c0
	ds_write_b128 v138, v[108:111]
	ds_write_b128 v138, v[114:117] offset:1344
	ds_write_b128 v138, v[118:121] offset:2688
	;; [unrolled: 1-line block ×6, first 2 shown]
	v_add_co_u32_e64 v122, s[2:3], s2, v112
	v_addc_co_u32_e64 v123, s[2:3], 0, v135, s[2:3]
	s_movk_i32 s2, 0x2000
	v_add_co_u32_e64 v118, s[2:3], s2, v112
	v_addc_co_u32_e64 v119, s[2:3], 0, v135, s[2:3]
	s_movk_i32 s2, 0x3000
	s_waitcnt lgkmcnt(0)
	s_barrier
	global_load_dwordx4 v[108:111], v[122:123], off offset:1344
	global_load_dwordx4 v[114:117], v[122:123], off offset:2688
	s_nop 0
	global_load_dwordx4 v[118:121], v[118:119], off offset:1216
	s_nop 0
	global_load_dwordx4 v[122:125], v[122:123], off offset:4032
	v_add_co_u32_e64 v130, s[2:3], s2, v112
	v_addc_co_u32_e64 v131, s[2:3], 0, v135, s[2:3]
	s_movk_i32 s2, 0x4000
	v_add_co_u32_e64 v134, s[2:3], s2, v112
	global_load_dwordx4 v[126:129], v[130:131], off offset:2496
	s_nop 0
	global_load_dwordx4 v[130:133], v[130:131], off offset:3840
	v_addc_co_u32_e64 v135, s[2:3], 0, v135, s[2:3]
	global_load_dwordx4 v[147:150], v[134:135], off offset:1088
	ds_read_b128 v[151:154], v138
	ds_read_b128 v[155:158], v138 offset:1344
	ds_read_b128 v[159:162], v138 offset:2688
	;; [unrolled: 1-line block ×6, first 2 shown]
	s_mov_b32 s21, 0x3fe11646
	s_mov_b32 s29, 0xbfdc38aa
	s_waitcnt vmcnt(6) lgkmcnt(5)
	v_mul_f64 v[179:180], v[157:158], v[110:111]
	v_mul_f64 v[110:111], v[155:156], v[110:111]
	s_waitcnt vmcnt(4)
	v_mul_f64 v[134:135], v[153:154], v[120:121]
	v_mul_f64 v[120:121], v[151:152], v[120:121]
	s_waitcnt lgkmcnt(4)
	v_mul_f64 v[181:182], v[161:162], v[116:117]
	v_mul_f64 v[183:184], v[159:160], v[116:117]
	s_waitcnt vmcnt(3) lgkmcnt(3)
	v_mul_f64 v[185:186], v[165:166], v[124:125]
	v_mul_f64 v[124:125], v[163:164], v[124:125]
	s_waitcnt vmcnt(2) lgkmcnt(2)
	;; [unrolled: 3-line block ×4, first 2 shown]
	v_mul_f64 v[193:194], v[177:178], v[149:150]
	v_mul_f64 v[195:196], v[175:176], v[149:150]
	v_fma_f64 v[116:117], v[151:152], v[118:119], -v[134:135]
	v_fma_f64 v[118:119], v[153:154], v[118:119], v[120:121]
	v_fma_f64 v[132:133], v[155:156], v[108:109], -v[179:180]
	v_fma_f64 v[134:135], v[157:158], v[108:109], v[110:111]
	;; [unrolled: 2-line block ×7, first 2 shown]
	ds_write_b128 v138, v[116:119]
	ds_write_b128 v138, v[132:135] offset:1344
	ds_write_b128 v138, v[108:111] offset:2688
	;; [unrolled: 1-line block ×6, first 2 shown]
	s_waitcnt lgkmcnt(0)
	s_barrier
	ds_read_b128 v[108:111], v138
	ds_read_b128 v[114:117], v138 offset:1344
	ds_read_b128 v[118:121], v138 offset:8064
	;; [unrolled: 1-line block ×6, first 2 shown]
	s_waitcnt lgkmcnt(4)
	v_add_f64 v[134:135], v[114:115], v[118:119]
	v_add_f64 v[151:152], v[116:117], v[120:121]
	v_add_f64 v[114:115], v[114:115], -v[118:119]
	v_add_f64 v[116:117], v[116:117], -v[120:121]
	s_waitcnt lgkmcnt(0)
	v_add_f64 v[118:119], v[122:123], v[147:148]
	v_add_f64 v[120:121], v[124:125], v[149:150]
	v_add_f64 v[122:123], v[122:123], -v[147:148]
	v_add_f64 v[124:125], v[124:125], -v[149:150]
	v_add_f64 v[147:148], v[126:127], v[130:131]
	v_add_f64 v[149:150], v[128:129], v[132:133]
	v_add_f64 v[126:127], v[130:131], -v[126:127]
	v_add_f64 v[128:129], v[132:133], -v[128:129]
	;; [unrolled: 4-line block ×3, first 2 shown]
	v_add_f64 v[134:135], v[134:135], -v[147:148]
	v_add_f64 v[151:152], v[151:152], -v[149:150]
	;; [unrolled: 1-line block ×4, first 2 shown]
	v_add_f64 v[157:158], v[126:127], v[122:123]
	v_add_f64 v[159:160], v[128:129], v[124:125]
	v_add_f64 v[161:162], v[126:127], -v[122:123]
	v_add_f64 v[163:164], v[128:129], -v[124:125]
	v_add_f64 v[130:131], v[147:148], v[130:131]
	v_add_f64 v[132:133], v[149:150], v[132:133]
	v_add_f64 v[122:123], v[122:123], -v[114:115]
	v_add_f64 v[124:125], v[124:125], -v[116:117]
	;; [unrolled: 1-line block ×4, first 2 shown]
	v_add_f64 v[147:148], v[157:158], v[114:115]
	v_add_f64 v[149:150], v[159:160], v[116:117]
	v_mul_f64 v[134:135], v[134:135], s[16:17]
	v_mul_f64 v[151:152], v[151:152], s[16:17]
	;; [unrolled: 1-line block ×6, first 2 shown]
	v_add_f64 v[114:115], v[108:109], v[130:131]
	v_add_f64 v[116:117], v[110:111], v[132:133]
	v_mul_f64 v[165:166], v[122:123], s[34:35]
	v_mul_f64 v[167:168], v[124:125], s[34:35]
	v_fma_f64 v[108:109], v[118:119], s[6:7], v[134:135]
	v_fma_f64 v[110:111], v[120:121], s[6:7], v[151:152]
	v_fma_f64 v[118:119], v[153:154], s[22:23], -v[157:158]
	v_fma_f64 v[120:121], v[155:156], s[22:23], -v[159:160]
	;; [unrolled: 1-line block ×4, first 2 shown]
	v_fma_f64 v[130:131], v[130:131], s[18:19], v[114:115]
	v_fma_f64 v[132:133], v[132:133], s[18:19], v[116:117]
	;; [unrolled: 1-line block ×6, first 2 shown]
	v_fma_f64 v[122:123], v[122:123], s[14:15], -v[161:162]
	v_fma_f64 v[124:125], v[124:125], s[14:15], -v[163:164]
	v_add_f64 v[108:109], v[108:109], v[130:131]
	v_add_f64 v[110:111], v[110:111], v[132:133]
	v_fma_f64 v[153:154], v[147:148], s[28:29], v[153:154]
	v_fma_f64 v[155:156], v[149:150], s[28:29], v[155:156]
	v_add_f64 v[134:135], v[134:135], v[130:131]
	v_add_f64 v[151:152], v[151:152], v[132:133]
	v_fma_f64 v[161:162], v[149:150], s[28:29], v[128:129]
	v_fma_f64 v[163:164], v[147:148], s[28:29], v[126:127]
	;; [unrolled: 4-line block ×3, first 2 shown]
	v_add_f64 v[118:119], v[108:109], v[155:156]
	v_add_f64 v[120:121], v[110:111], -v[153:154]
	v_add_f64 v[122:123], v[134:135], v[161:162]
	v_add_f64 v[124:125], v[151:152], -v[163:164]
	v_add_f64 v[147:148], v[134:135], -v[161:162]
	v_add_f64 v[149:150], v[163:164], v[151:152]
	v_add_f64 v[126:127], v[157:158], -v[130:131]
	v_add_f64 v[128:129], v[132:133], v[159:160]
	v_add_f64 v[130:131], v[157:158], v[130:131]
	v_add_f64 v[132:133], v[159:160], -v[132:133]
	v_add_f64 v[108:109], v[108:109], -v[155:156]
	v_add_f64 v[110:111], v[153:154], v[110:111]
	s_barrier
	ds_write_b128 v113, v[114:117]
	ds_write_b128 v113, v[118:121] offset:16
	ds_write_b128 v113, v[122:125] offset:32
	;; [unrolled: 1-line block ×6, first 2 shown]
	s_waitcnt lgkmcnt(0)
	s_barrier
	ds_read_b128 v[116:119], v138
	ds_read_b128 v[112:115], v138 offset:1344
	ds_read_b128 v[128:131], v138 offset:3136
	;; [unrolled: 1-line block ×5, first 2 shown]
	s_and_saveexec_b64 s[2:3], vcc
	s_cbranch_execz .LBB0_11
; %bb.10:
	ds_read_b128 v[108:111], v138 offset:2688
	ds_read_b128 v[104:107], v138 offset:5824
	;; [unrolled: 1-line block ×3, first 2 shown]
.LBB0_11:
	s_or_b64 exec, exec, s[2:3]
	s_waitcnt lgkmcnt(3)
	v_mul_f64 v[147:148], v[34:35], v[130:131]
	s_waitcnt lgkmcnt(1)
	v_mul_f64 v[149:150], v[30:31], v[134:135]
	v_mul_f64 v[34:35], v[34:35], v[128:129]
	;; [unrolled: 1-line block ×5, first 2 shown]
	s_waitcnt lgkmcnt(0)
	v_mul_f64 v[153:154], v[38:39], v[126:127]
	v_mul_f64 v[38:39], v[38:39], v[124:125]
	v_fma_f64 v[128:129], v[32:33], v[128:129], v[147:148]
	v_fma_f64 v[132:133], v[28:29], v[132:133], v[149:150]
	v_mul_f64 v[147:148], v[50:51], v[106:107]
	v_mul_f64 v[50:51], v[50:51], v[104:105]
	;; [unrolled: 1-line block ×4, first 2 shown]
	v_fma_f64 v[32:33], v[32:33], v[130:131], -v[34:35]
	v_fma_f64 v[28:29], v[28:29], v[134:135], -v[30:31]
	v_fma_f64 v[34:35], v[40:41], v[120:121], v[151:152]
	v_add_f64 v[30:31], v[128:129], v[132:133]
	v_fma_f64 v[40:41], v[40:41], v[122:123], -v[42:43]
	v_fma_f64 v[42:43], v[36:37], v[124:125], v[153:154]
	v_fma_f64 v[36:37], v[36:37], v[126:127], -v[38:39]
	v_add_f64 v[38:39], v[116:117], v[128:129]
	v_fma_f64 v[120:121], v[48:49], v[104:105], v[147:148]
	v_fma_f64 v[48:49], v[48:49], v[106:107], -v[50:51]
	v_add_f64 v[50:51], v[32:33], -v[28:29]
	v_fma_f64 v[30:31], v[30:31], -0.5, v[116:117]
	v_fma_f64 v[122:123], v[44:45], v[100:101], v[149:150]
	v_fma_f64 v[124:125], v[44:45], v[102:103], -v[46:47]
	v_add_f64 v[44:45], v[32:33], v[28:29]
	v_add_f64 v[32:33], v[118:119], v[32:33]
	s_mov_b32 s6, 0xe8584caa
	s_mov_b32 s7, 0xbfebb67a
	;; [unrolled: 1-line block ×4, first 2 shown]
	v_add_f64 v[100:101], v[38:39], v[132:133]
	v_add_f64 v[38:39], v[34:35], v[42:43]
	v_fma_f64 v[104:105], v[50:51], s[6:7], v[30:31]
	v_fma_f64 v[44:45], v[44:45], -0.5, v[118:119]
	v_add_f64 v[46:47], v[128:129], -v[132:133]
	v_add_f64 v[126:127], v[112:113], v[34:35]
	v_fma_f64 v[116:117], v[50:51], s[2:3], v[30:31]
	v_add_f64 v[102:103], v[32:33], v[28:29]
	v_add_f64 v[30:31], v[40:41], v[36:37]
	;; [unrolled: 1-line block ×4, first 2 shown]
	v_fma_f64 v[38:39], v[38:39], -0.5, v[112:113]
	v_add_f64 v[128:129], v[40:41], -v[36:37]
	v_fma_f64 v[106:107], v[46:47], s[2:3], v[44:45]
	v_fma_f64 v[118:119], v[46:47], s[6:7], v[44:45]
	v_add_f64 v[112:113], v[126:127], v[42:43]
	v_add_f64 v[40:41], v[114:115], v[40:41]
	v_fma_f64 v[126:127], v[30:31], -0.5, v[114:115]
	v_add_f64 v[34:35], v[34:35], -v[42:43]
	v_add_f64 v[42:43], v[120:121], v[108:109]
	v_fma_f64 v[44:45], v[32:33], -0.5, v[108:109]
	v_add_f64 v[46:47], v[48:49], -v[124:125]
	;; [unrolled: 3-line block ×3, first 2 shown]
	v_fma_f64 v[28:29], v[128:129], s[6:7], v[38:39]
	v_fma_f64 v[32:33], v[128:129], s[2:3], v[38:39]
	v_add_f64 v[114:115], v[40:41], v[36:37]
	v_fma_f64 v[30:31], v[34:35], s[2:3], v[126:127]
	v_fma_f64 v[34:35], v[34:35], s[6:7], v[126:127]
	v_add_f64 v[36:37], v[42:43], v[122:123]
	v_fma_f64 v[40:41], v[46:47], s[6:7], v[44:45]
	v_add_f64 v[38:39], v[124:125], v[108:109]
	v_fma_f64 v[42:43], v[50:51], s[2:3], v[48:49]
	s_barrier
	ds_write_b128 v144, v[100:103]
	ds_write_b128 v144, v[104:107] offset:112
	ds_write_b128 v144, v[116:119] offset:224
	ds_write_b128 v145, v[112:115]
	ds_write_b128 v145, v[28:31] offset:112
	ds_write_b128 v145, v[32:35] offset:224
	s_and_saveexec_b64 s[6:7], vcc
	s_cbranch_execz .LBB0_13
; %bb.12:
	v_mul_f64 v[50:51], v[50:51], s[2:3]
	v_mul_f64 v[100:101], v[46:47], s[2:3]
	v_add_f64 v[46:47], v[48:49], -v[50:51]
	v_add_f64 v[44:45], v[100:101], v[44:45]
	v_mul_u32_u24_e32 v48, 21, v140
	v_add_u32_sdwa v48, v48, v141 dst_sel:DWORD dst_unused:UNUSED_PAD src0_sel:DWORD src1_sel:BYTE_0
	v_lshl_add_u32 v48, v48, 4, v139
	ds_write_b128 v48, v[36:39]
	ds_write_b128 v48, v[40:43] offset:112
	ds_write_b128 v48, v[44:47] offset:224
.LBB0_13:
	s_or_b64 exec, exec, s[6:7]
	s_waitcnt lgkmcnt(0)
	s_barrier
	ds_read_b128 v[44:47], v138
	ds_read_b128 v[104:107], v138 offset:2352
	ds_read_b128 v[100:103], v138 offset:4704
	;; [unrolled: 1-line block ×3, first 2 shown]
	s_and_saveexec_b64 s[2:3], s[0:1]
	s_cbranch_execz .LBB0_15
; %bb.14:
	ds_read_b128 v[28:31], v138 offset:1344
	ds_read_b128 v[32:35], v138 offset:3696
	ds_read_b128 v[36:39], v138 offset:6048
	ds_read_b128 v[40:43], v138 offset:8400
.LBB0_15:
	s_or_b64 exec, exec, s[2:3]
	s_waitcnt lgkmcnt(2)
	v_mul_f64 v[108:109], v[70:71], v[106:107]
	v_mul_f64 v[70:71], v[70:71], v[104:105]
	s_waitcnt lgkmcnt(1)
	v_mul_f64 v[110:111], v[66:67], v[102:103]
	v_mul_f64 v[66:67], v[66:67], v[100:101]
	;; [unrolled: 3-line block ×3, first 2 shown]
	s_barrier
	v_fma_f64 v[104:105], v[68:69], v[104:105], v[108:109]
	v_fma_f64 v[68:69], v[68:69], v[106:107], -v[70:71]
	v_fma_f64 v[70:71], v[64:65], v[100:101], v[110:111]
	v_fma_f64 v[64:65], v[64:65], v[102:103], -v[66:67]
	;; [unrolled: 2-line block ×3, first 2 shown]
	v_add_f64 v[66:67], v[44:45], -v[70:71]
	v_add_f64 v[70:71], v[46:47], -v[64:65]
	;; [unrolled: 1-line block ×4, first 2 shown]
	v_fma_f64 v[72:73], v[44:45], 2.0, -v[66:67]
	v_fma_f64 v[74:75], v[46:47], 2.0, -v[70:71]
	;; [unrolled: 1-line block ×4, first 2 shown]
	v_add_f64 v[44:45], v[66:67], v[50:51]
	v_add_f64 v[46:47], v[70:71], -v[48:49]
	v_add_f64 v[48:49], v[72:73], -v[64:65]
	;; [unrolled: 1-line block ×3, first 2 shown]
	v_fma_f64 v[64:65], v[66:67], 2.0, -v[44:45]
	v_fma_f64 v[66:67], v[70:71], 2.0, -v[46:47]
	;; [unrolled: 1-line block ×4, first 2 shown]
	ds_write_b128 v146, v[64:67] offset:336
	ds_write_b128 v146, v[48:51] offset:672
	ds_write_b128 v146, v[68:71]
	ds_write_b128 v146, v[44:47] offset:1008
	s_and_saveexec_b64 s[2:3], s[0:1]
	s_cbranch_execz .LBB0_17
; %bb.16:
	v_mul_f64 v[44:45], v[54:55], v[36:37]
	v_mul_f64 v[46:47], v[62:63], v[34:35]
	;; [unrolled: 1-line block ×6, first 2 shown]
	s_movk_i32 s0, 0x54
	v_fma_f64 v[38:39], v[52:53], v[38:39], -v[44:45]
	v_fma_f64 v[32:33], v[60:61], v[32:33], v[46:47]
	v_fma_f64 v[34:35], v[60:61], v[34:35], -v[48:49]
	v_fma_f64 v[42:43], v[56:57], v[42:43], -v[50:51]
	v_fma_f64 v[36:37], v[52:53], v[36:37], v[54:55]
	v_fma_f64 v[40:41], v[56:57], v[40:41], v[58:59]
	v_add_f64 v[38:39], v[30:31], -v[38:39]
	v_add_f64 v[42:43], v[34:35], -v[42:43]
	;; [unrolled: 1-line block ×4, first 2 shown]
	v_fma_f64 v[44:45], v[30:31], 2.0, -v[38:39]
	v_fma_f64 v[34:35], v[34:35], 2.0, -v[42:43]
	;; [unrolled: 1-line block ×4, first 2 shown]
	v_add_f64 v[30:31], v[38:39], -v[40:41]
	v_add_f64 v[28:29], v[36:37], v[42:43]
	v_add_f64 v[34:35], v[44:45], -v[34:35]
	v_add_f64 v[32:33], v[46:47], -v[32:33]
	v_fma_f64 v[38:39], v[38:39], 2.0, -v[30:31]
	v_fma_f64 v[36:37], v[36:37], 2.0, -v[28:29]
	;; [unrolled: 1-line block ×3, first 2 shown]
	v_mul_u32_u24_sdwa v44, v142, s0 dst_sel:DWORD dst_unused:UNUSED_PAD src0_sel:WORD_0 src1_sel:DWORD
	v_fma_f64 v[40:41], v[46:47], 2.0, -v[32:33]
	v_add_u32_e32 v44, v44, v143
	v_lshl_add_u32 v44, v44, 4, v139
	ds_write_b128 v44, v[36:39] offset:336
	ds_write_b128 v44, v[32:35] offset:672
	ds_write_b128 v44, v[40:43]
	ds_write_b128 v44, v[28:31] offset:1008
.LBB0_17:
	s_or_b64 exec, exec, s[2:3]
	s_waitcnt lgkmcnt(0)
	s_barrier
	ds_read_b128 v[28:31], v138 offset:1344
	ds_read_b128 v[32:35], v138 offset:2688
	;; [unrolled: 1-line block ×3, first 2 shown]
	ds_read_b128 v[40:43], v138
	ds_read_b128 v[44:47], v138 offset:5376
	ds_read_b128 v[48:51], v138 offset:6720
	;; [unrolled: 1-line block ×3, first 2 shown]
	s_mov_b32 s0, 0x37e14327
	s_waitcnt lgkmcnt(6)
	v_mul_f64 v[56:57], v[90:91], v[30:31]
	v_mul_f64 v[58:59], v[90:91], v[28:29]
	s_waitcnt lgkmcnt(5)
	v_mul_f64 v[60:61], v[86:87], v[34:35]
	v_mul_f64 v[62:63], v[86:87], v[32:33]
	;; [unrolled: 3-line block ×3, first 2 shown]
	v_mul_f64 v[68:69], v[78:79], v[46:47]
	v_mul_f64 v[70:71], v[78:79], v[44:45]
	v_fma_f64 v[28:29], v[88:89], v[28:29], v[56:57]
	v_fma_f64 v[30:31], v[88:89], v[30:31], -v[58:59]
	s_waitcnt lgkmcnt(0)
	v_mul_f64 v[56:57], v[94:95], v[54:55]
	v_mul_f64 v[58:59], v[94:95], v[52:53]
	v_fma_f64 v[32:33], v[84:85], v[32:33], v[60:61]
	v_fma_f64 v[34:35], v[84:85], v[34:35], -v[62:63]
	v_mul_f64 v[60:61], v[82:83], v[38:39]
	v_mul_f64 v[62:63], v[82:83], v[36:37]
	v_fma_f64 v[48:49], v[96:97], v[48:49], v[64:65]
	v_fma_f64 v[50:51], v[96:97], v[50:51], -v[66:67]
	v_fma_f64 v[52:53], v[92:93], v[52:53], v[56:57]
	v_fma_f64 v[54:55], v[92:93], v[54:55], -v[58:59]
	;; [unrolled: 2-line block ×4, first 2 shown]
	s_mov_b32 s1, 0x3fe948f6
	s_mov_b32 s2, 0xe976ee23
	v_add_f64 v[56:57], v[28:29], v[52:53]
	v_add_f64 v[58:59], v[30:31], v[54:55]
	v_add_f64 v[28:29], v[28:29], -v[52:53]
	v_add_f64 v[30:31], v[30:31], -v[54:55]
	v_add_f64 v[52:53], v[32:33], v[48:49]
	v_add_f64 v[54:55], v[34:35], v[50:51]
	v_add_f64 v[32:33], v[32:33], -v[48:49]
	v_add_f64 v[34:35], v[34:35], -v[50:51]
	v_add_f64 v[48:49], v[36:37], v[44:45]
	v_add_f64 v[50:51], v[38:39], v[46:47]
	v_add_f64 v[36:37], v[44:45], -v[36:37]
	v_add_f64 v[38:39], v[46:47], -v[38:39]
	v_add_f64 v[44:45], v[52:53], v[56:57]
	v_add_f64 v[46:47], v[54:55], v[58:59]
	v_add_f64 v[60:61], v[52:53], -v[56:57]
	v_add_f64 v[62:63], v[54:55], -v[58:59]
	v_add_f64 v[56:57], v[56:57], -v[48:49]
	v_add_f64 v[58:59], v[58:59], -v[50:51]
	v_add_f64 v[64:65], v[36:37], v[32:33]
	v_add_f64 v[66:67], v[38:39], v[34:35]
	;; [unrolled: 1-line block ×4, first 2 shown]
	v_add_f64 v[52:53], v[48:49], -v[52:53]
	v_add_f64 v[54:55], v[50:51], -v[54:55]
	;; [unrolled: 1-line block ×8, first 2 shown]
	v_add_f64 v[48:49], v[64:65], v[28:29]
	v_add_f64 v[50:51], v[66:67], v[30:31]
	;; [unrolled: 1-line block ×4, first 2 shown]
	v_mul_f64 v[40:41], v[56:57], s[0:1]
	v_mul_f64 v[42:43], v[58:59], s[0:1]
	s_mov_b32 s0, 0x36b3c0b5
	s_mov_b32 s1, 0x3fac98ee
	v_mul_f64 v[56:57], v[52:53], s[0:1]
	v_mul_f64 v[58:59], v[54:55], s[0:1]
	s_mov_b32 s3, 0x3fe11646
	v_mul_f64 v[64:65], v[68:69], s[2:3]
	v_mul_f64 v[66:67], v[70:71], s[2:3]
	s_mov_b32 s2, 0x429ad128
	s_mov_b32 s3, 0xbfebfeb5
	v_mul_f64 v[68:69], v[32:33], s[2:3]
	v_mul_f64 v[70:71], v[34:35], s[2:3]
	v_fma_f64 v[52:53], v[52:53], s[0:1], v[40:41]
	v_fma_f64 v[54:55], v[54:55], s[0:1], v[42:43]
	s_mov_b32 s1, 0x3fe77f67
	s_mov_b32 s0, 0x5476071b
	;; [unrolled: 1-line block ×3, first 2 shown]
	v_fma_f64 v[56:57], v[60:61], s[0:1], -v[56:57]
	v_fma_f64 v[58:59], v[62:63], s[0:1], -v[58:59]
	s_mov_b32 s1, 0xbfe77f67
	s_mov_b32 s7, 0xbff2aaaa
	v_fma_f64 v[40:41], v[60:61], s[0:1], -v[40:41]
	v_fma_f64 v[42:43], v[62:63], s[0:1], -v[42:43]
	s_mov_b32 s1, 0xbfd5d0dc
	s_mov_b32 s0, 0xb247c609
	v_fma_f64 v[44:45], v[44:45], s[6:7], v[28:29]
	v_fma_f64 v[46:47], v[46:47], s[6:7], v[30:31]
	;; [unrolled: 1-line block ×4, first 2 shown]
	s_mov_b32 s1, 0x3fd5d0dc
	v_fma_f64 v[36:37], v[36:37], s[0:1], -v[68:69]
	v_fma_f64 v[38:39], v[38:39], s[0:1], -v[70:71]
	;; [unrolled: 1-line block ×4, first 2 shown]
	s_mov_b32 s0, 0x37c3f68c
	s_mov_b32 s1, 0xbfdc38aa
	v_add_f64 v[52:53], v[52:53], v[44:45]
	v_add_f64 v[54:55], v[54:55], v[46:47]
	v_fma_f64 v[62:63], v[50:51], s[0:1], v[62:63]
	v_fma_f64 v[60:61], v[48:49], s[0:1], v[60:61]
	v_add_f64 v[64:65], v[40:41], v[44:45]
	v_add_f64 v[66:67], v[42:43], v[46:47]
	v_fma_f64 v[68:69], v[50:51], s[0:1], v[38:39]
	v_fma_f64 v[70:71], v[48:49], s[0:1], v[36:37]
	;; [unrolled: 4-line block ×3, first 2 shown]
	v_add_f64 v[32:33], v[62:63], v[52:53]
	v_add_f64 v[34:35], v[54:55], -v[60:61]
	v_add_f64 v[36:37], v[68:69], v[64:65]
	v_add_f64 v[38:39], v[66:67], -v[70:71]
	v_add_f64 v[48:49], v[64:65], -v[68:69]
	v_add_f64 v[50:51], v[70:71], v[66:67]
	v_add_f64 v[40:41], v[56:57], -v[44:45]
	v_add_f64 v[42:43], v[46:47], v[58:59]
	v_add_f64 v[44:45], v[44:45], v[56:57]
	v_add_f64 v[46:47], v[58:59], -v[46:47]
	v_add_f64 v[52:53], v[52:53], -v[62:63]
	v_add_f64 v[54:55], v[60:61], v[54:55]
	ds_write_b128 v138, v[28:31]
	ds_write_b128 v138, v[32:35] offset:1344
	ds_write_b128 v138, v[36:39] offset:2688
	ds_write_b128 v138, v[40:43] offset:4032
	ds_write_b128 v138, v[44:47] offset:5376
	ds_write_b128 v138, v[48:51] offset:6720
	ds_write_b128 v138, v[52:55] offset:8064
	s_waitcnt lgkmcnt(0)
	s_barrier
	ds_read_b128 v[28:31], v138
	ds_read_b128 v[32:35], v138 offset:1344
	v_mad_u64_u32 v[36:37], s[0:1], s10, v136, 0
	s_mul_i32 s2, s9, 0x540
	s_waitcnt lgkmcnt(1)
	v_mul_f64 v[38:39], v[26:27], v[30:31]
	v_mul_f64 v[26:27], v[26:27], v[28:29]
	s_mul_hi_u32 s3, s8, 0x540
	s_add_i32 s2, s3, s2
	s_mul_i32 s3, s8, 0x540
	v_mad_u64_u32 v[40:41], s[0:1], s11, v136, v[37:38]
	v_mad_u64_u32 v[41:42], s[0:1], s8, v137, 0
	v_fma_f64 v[28:29], v[24:25], v[28:29], v[38:39]
	v_fma_f64 v[26:27], v[24:25], v[30:31], -v[26:27]
	v_mov_b32_e32 v24, v42
	v_mad_u64_u32 v[30:31], s[0:1], s9, v137, v[24:25]
	s_mov_b32 s0, 0x899406f7
	s_mov_b32 s1, 0x3f5bdd2b
	v_mov_b32_e32 v42, v30
	s_waitcnt lgkmcnt(0)
	v_mul_f64 v[30:31], v[14:15], v[34:35]
	v_mul_f64 v[14:15], v[14:15], v[32:33]
	v_mov_b32_e32 v37, v40
	v_mul_f64 v[24:25], v[28:29], s[0:1]
	v_mul_f64 v[26:27], v[26:27], s[0:1]
	v_lshlrev_b64 v[28:29], 4, v[36:37]
	v_mov_b32_e32 v36, s5
	v_add_co_u32_e32 v37, vcc, s4, v28
	v_fma_f64 v[30:31], v[12:13], v[32:33], v[30:31]
	v_fma_f64 v[32:33], v[12:13], v[34:35], -v[14:15]
	ds_read_b128 v[12:15], v138 offset:2688
	v_addc_co_u32_e32 v36, vcc, v36, v29, vcc
	v_lshlrev_b64 v[28:29], 4, v[41:42]
	v_mov_b32_e32 v38, s2
	v_add_co_u32_e32 v34, vcc, v37, v28
	v_addc_co_u32_e32 v35, vcc, v36, v29, vcc
	global_store_dwordx4 v[34:35], v[24:27], off
	v_add_co_u32_e32 v34, vcc, s3, v34
	v_mul_f64 v[24:25], v[30:31], s[0:1]
	ds_read_b128 v[28:31], v138 offset:4032
	s_waitcnt lgkmcnt(1)
	v_mul_f64 v[36:37], v[18:19], v[14:15]
	v_mul_f64 v[18:19], v[18:19], v[12:13]
	;; [unrolled: 1-line block ×3, first 2 shown]
	v_addc_co_u32_e32 v35, vcc, v35, v38, vcc
	s_waitcnt lgkmcnt(0)
	v_mul_f64 v[32:33], v[6:7], v[30:31]
	v_mul_f64 v[6:7], v[6:7], v[28:29]
	v_fma_f64 v[12:13], v[16:17], v[12:13], v[36:37]
	v_fma_f64 v[14:15], v[16:17], v[14:15], -v[18:19]
	ds_read_b128 v[16:19], v138 offset:5376
	global_store_dwordx4 v[34:35], v[24:27], off
	v_mov_b32_e32 v36, s2
	v_fma_f64 v[24:25], v[4:5], v[28:29], v[32:33]
	v_fma_f64 v[26:27], v[4:5], v[30:31], -v[6:7]
	ds_read_b128 v[4:7], v138 offset:6720
	v_mul_f64 v[12:13], v[12:13], s[0:1]
	v_mul_f64 v[14:15], v[14:15], s[0:1]
	s_waitcnt lgkmcnt(1)
	v_mul_f64 v[28:29], v[22:23], v[18:19]
	v_mul_f64 v[22:23], v[22:23], v[16:17]
	v_add_co_u32_e32 v30, vcc, s3, v34
	v_addc_co_u32_e32 v31, vcc, v35, v36, vcc
	global_store_dwordx4 v[30:31], v[12:15], off
	s_nop 0
	v_mul_f64 v[12:13], v[24:25], s[0:1]
	v_fma_f64 v[24:25], v[20:21], v[16:17], v[28:29]
	v_fma_f64 v[20:21], v[20:21], v[18:19], -v[22:23]
	ds_read_b128 v[16:19], v138 offset:8064
	v_mul_f64 v[14:15], v[26:27], s[0:1]
	v_mov_b32_e32 v26, s2
	v_add_co_u32_e32 v22, vcc, s3, v30
	v_addc_co_u32_e32 v23, vcc, v31, v26, vcc
	s_waitcnt lgkmcnt(1)
	v_mul_f64 v[26:27], v[2:3], v[6:7]
	v_mul_f64 v[2:3], v[2:3], v[4:5]
	s_waitcnt lgkmcnt(0)
	v_mul_f64 v[28:29], v[10:11], v[18:19]
	v_mul_f64 v[30:31], v[10:11], v[16:17]
	global_store_dwordx4 v[22:23], v[12:15], off
	v_mul_f64 v[10:11], v[24:25], s[0:1]
	v_mul_f64 v[12:13], v[20:21], s[0:1]
	v_mov_b32_e32 v15, s2
	v_fma_f64 v[4:5], v[0:1], v[4:5], v[26:27]
	v_fma_f64 v[2:3], v[0:1], v[6:7], -v[2:3]
	v_fma_f64 v[6:7], v[8:9], v[16:17], v[28:29]
	v_fma_f64 v[8:9], v[8:9], v[18:19], -v[30:31]
	v_add_co_u32_e32 v14, vcc, s3, v22
	v_addc_co_u32_e32 v15, vcc, v23, v15, vcc
	v_mul_f64 v[0:1], v[4:5], s[0:1]
	v_mul_f64 v[2:3], v[2:3], s[0:1]
	;; [unrolled: 1-line block ×4, first 2 shown]
	global_store_dwordx4 v[14:15], v[10:13], off
	v_add_co_u32_e32 v8, vcc, s3, v14
	v_mov_b32_e32 v10, s2
	v_addc_co_u32_e32 v9, vcc, v15, v10, vcc
	global_store_dwordx4 v[8:9], v[0:3], off
	s_nop 0
	v_mov_b32_e32 v1, s2
	v_add_co_u32_e32 v0, vcc, s3, v8
	v_addc_co_u32_e32 v1, vcc, v9, v1, vcc
	global_store_dwordx4 v[0:1], v[4:7], off
.LBB0_18:
	s_endpgm
	.section	.rodata,"a",@progbits
	.p2align	6, 0x0
	.amdhsa_kernel bluestein_single_back_len588_dim1_dp_op_CI_CI
		.amdhsa_group_segment_fixed_size 28224
		.amdhsa_private_segment_fixed_size 0
		.amdhsa_kernarg_size 104
		.amdhsa_user_sgpr_count 6
		.amdhsa_user_sgpr_private_segment_buffer 1
		.amdhsa_user_sgpr_dispatch_ptr 0
		.amdhsa_user_sgpr_queue_ptr 0
		.amdhsa_user_sgpr_kernarg_segment_ptr 1
		.amdhsa_user_sgpr_dispatch_id 0
		.amdhsa_user_sgpr_flat_scratch_init 0
		.amdhsa_user_sgpr_private_segment_size 0
		.amdhsa_uses_dynamic_stack 0
		.amdhsa_system_sgpr_private_segment_wavefront_offset 0
		.amdhsa_system_sgpr_workgroup_id_x 1
		.amdhsa_system_sgpr_workgroup_id_y 0
		.amdhsa_system_sgpr_workgroup_id_z 0
		.amdhsa_system_sgpr_workgroup_info 0
		.amdhsa_system_vgpr_workitem_id 0
		.amdhsa_next_free_vgpr 197
		.amdhsa_next_free_sgpr 36
		.amdhsa_reserve_vcc 1
		.amdhsa_reserve_flat_scratch 0
		.amdhsa_float_round_mode_32 0
		.amdhsa_float_round_mode_16_64 0
		.amdhsa_float_denorm_mode_32 3
		.amdhsa_float_denorm_mode_16_64 3
		.amdhsa_dx10_clamp 1
		.amdhsa_ieee_mode 1
		.amdhsa_fp16_overflow 0
		.amdhsa_exception_fp_ieee_invalid_op 0
		.amdhsa_exception_fp_denorm_src 0
		.amdhsa_exception_fp_ieee_div_zero 0
		.amdhsa_exception_fp_ieee_overflow 0
		.amdhsa_exception_fp_ieee_underflow 0
		.amdhsa_exception_fp_ieee_inexact 0
		.amdhsa_exception_int_div_zero 0
	.end_amdhsa_kernel
	.text
.Lfunc_end0:
	.size	bluestein_single_back_len588_dim1_dp_op_CI_CI, .Lfunc_end0-bluestein_single_back_len588_dim1_dp_op_CI_CI
                                        ; -- End function
	.section	.AMDGPU.csdata,"",@progbits
; Kernel info:
; codeLenInByte = 9368
; NumSgprs: 40
; NumVgprs: 197
; ScratchSize: 0
; MemoryBound: 0
; FloatMode: 240
; IeeeMode: 1
; LDSByteSize: 28224 bytes/workgroup (compile time only)
; SGPRBlocks: 4
; VGPRBlocks: 49
; NumSGPRsForWavesPerEU: 40
; NumVGPRsForWavesPerEU: 197
; Occupancy: 1
; WaveLimiterHint : 1
; COMPUTE_PGM_RSRC2:SCRATCH_EN: 0
; COMPUTE_PGM_RSRC2:USER_SGPR: 6
; COMPUTE_PGM_RSRC2:TRAP_HANDLER: 0
; COMPUTE_PGM_RSRC2:TGID_X_EN: 1
; COMPUTE_PGM_RSRC2:TGID_Y_EN: 0
; COMPUTE_PGM_RSRC2:TGID_Z_EN: 0
; COMPUTE_PGM_RSRC2:TIDIG_COMP_CNT: 0
	.type	__hip_cuid_930bc47bbaa2aa2,@object ; @__hip_cuid_930bc47bbaa2aa2
	.section	.bss,"aw",@nobits
	.globl	__hip_cuid_930bc47bbaa2aa2
__hip_cuid_930bc47bbaa2aa2:
	.byte	0                               ; 0x0
	.size	__hip_cuid_930bc47bbaa2aa2, 1

	.ident	"AMD clang version 19.0.0git (https://github.com/RadeonOpenCompute/llvm-project roc-6.4.0 25133 c7fe45cf4b819c5991fe208aaa96edf142730f1d)"
	.section	".note.GNU-stack","",@progbits
	.addrsig
	.addrsig_sym __hip_cuid_930bc47bbaa2aa2
	.amdgpu_metadata
---
amdhsa.kernels:
  - .args:
      - .actual_access:  read_only
        .address_space:  global
        .offset:         0
        .size:           8
        .value_kind:     global_buffer
      - .actual_access:  read_only
        .address_space:  global
        .offset:         8
        .size:           8
        .value_kind:     global_buffer
      - .actual_access:  read_only
        .address_space:  global
        .offset:         16
        .size:           8
        .value_kind:     global_buffer
      - .actual_access:  read_only
        .address_space:  global
        .offset:         24
        .size:           8
        .value_kind:     global_buffer
      - .actual_access:  read_only
        .address_space:  global
        .offset:         32
        .size:           8
        .value_kind:     global_buffer
      - .offset:         40
        .size:           8
        .value_kind:     by_value
      - .address_space:  global
        .offset:         48
        .size:           8
        .value_kind:     global_buffer
      - .address_space:  global
        .offset:         56
        .size:           8
        .value_kind:     global_buffer
      - .address_space:  global
        .offset:         64
        .size:           8
        .value_kind:     global_buffer
      - .address_space:  global
        .offset:         72
        .size:           8
        .value_kind:     global_buffer
      - .offset:         80
        .size:           4
        .value_kind:     by_value
      - .address_space:  global
        .offset:         88
        .size:           8
        .value_kind:     global_buffer
      - .address_space:  global
        .offset:         96
        .size:           8
        .value_kind:     global_buffer
    .group_segment_fixed_size: 28224
    .kernarg_segment_align: 8
    .kernarg_segment_size: 104
    .language:       OpenCL C
    .language_version:
      - 2
      - 0
    .max_flat_workgroup_size: 252
    .name:           bluestein_single_back_len588_dim1_dp_op_CI_CI
    .private_segment_fixed_size: 0
    .sgpr_count:     40
    .sgpr_spill_count: 0
    .symbol:         bluestein_single_back_len588_dim1_dp_op_CI_CI.kd
    .uniform_work_group_size: 1
    .uses_dynamic_stack: false
    .vgpr_count:     197
    .vgpr_spill_count: 0
    .wavefront_size: 64
amdhsa.target:   amdgcn-amd-amdhsa--gfx906
amdhsa.version:
  - 1
  - 2
...

	.end_amdgpu_metadata
